;; amdgpu-corpus repo=ROCm/rocFFT kind=compiled arch=gfx950 opt=O3
	.text
	.amdgcn_target "amdgcn-amd-amdhsa--gfx950"
	.amdhsa_code_object_version 6
	.protected	fft_rtc_back_len144_factors_6_6_4_wgs_120_tpt_12_halfLds_dp_ip_CI_unitstride_sbrr_C2R_dirReg ; -- Begin function fft_rtc_back_len144_factors_6_6_4_wgs_120_tpt_12_halfLds_dp_ip_CI_unitstride_sbrr_C2R_dirReg
	.globl	fft_rtc_back_len144_factors_6_6_4_wgs_120_tpt_12_halfLds_dp_ip_CI_unitstride_sbrr_C2R_dirReg
	.p2align	8
	.type	fft_rtc_back_len144_factors_6_6_4_wgs_120_tpt_12_halfLds_dp_ip_CI_unitstride_sbrr_C2R_dirReg,@function
fft_rtc_back_len144_factors_6_6_4_wgs_120_tpt_12_halfLds_dp_ip_CI_unitstride_sbrr_C2R_dirReg: ; @fft_rtc_back_len144_factors_6_6_4_wgs_120_tpt_12_halfLds_dp_ip_CI_unitstride_sbrr_C2R_dirReg
; %bb.0:
	s_load_dwordx2 s[8:9], s[0:1], 0x50
	s_load_dwordx4 s[4:7], s[0:1], 0x0
	s_load_dwordx2 s[10:11], s[0:1], 0x18
	v_mul_u32_u24_e32 v1, 0x1556, v0
	v_lshrrev_b32_e32 v2, 16, v1
	v_mad_u64_u32 v[2:3], s[2:3], s2, 10, v[2:3]
	v_mov_b32_e32 v6, 0
	v_mov_b32_e32 v3, v6
	s_waitcnt lgkmcnt(0)
	v_cmp_lt_u64_e64 s[2:3], s[6:7], 2
	s_and_b64 vcc, exec, s[2:3]
	v_mov_b64_e32 v[4:5], 0
	v_mov_b64_e32 v[10:11], v[2:3]
	s_cbranch_vccnz .LBB0_8
; %bb.1:
	s_load_dwordx2 s[2:3], s[0:1], 0x10
	s_add_u32 s12, s10, 8
	s_addc_u32 s13, s11, 0
	s_mov_b64 s[14:15], 1
	v_mov_b64_e32 v[4:5], 0
	s_waitcnt lgkmcnt(0)
	s_add_u32 s16, s2, 8
	s_addc_u32 s17, s3, 0
	v_mov_b64_e32 v[8:9], v[2:3]
.LBB0_2:                                ; =>This Inner Loop Header: Depth=1
	s_load_dwordx2 s[18:19], s[16:17], 0x0
                                        ; implicit-def: $vgpr10_vgpr11
	s_waitcnt lgkmcnt(0)
	v_or_b32_e32 v7, s19, v9
	v_cmp_ne_u64_e32 vcc, 0, v[6:7]
	s_and_saveexec_b64 s[2:3], vcc
	s_xor_b64 s[20:21], exec, s[2:3]
	s_cbranch_execz .LBB0_4
; %bb.3:                                ;   in Loop: Header=BB0_2 Depth=1
	v_cvt_f32_u32_e32 v1, s18
	v_cvt_f32_u32_e32 v3, s19
	s_sub_u32 s2, 0, s18
	s_subb_u32 s3, 0, s19
	v_fmac_f32_e32 v1, 0x4f800000, v3
	v_rcp_f32_e32 v1, v1
	s_nop 0
	v_mul_f32_e32 v1, 0x5f7ffffc, v1
	v_mul_f32_e32 v3, 0x2f800000, v1
	v_trunc_f32_e32 v3, v3
	v_fmac_f32_e32 v1, 0xcf800000, v3
	v_cvt_u32_f32_e32 v3, v3
	v_cvt_u32_f32_e32 v1, v1
	v_mul_lo_u32 v7, s2, v3
	v_mul_hi_u32 v10, s2, v1
	v_mul_lo_u32 v11, s3, v1
	v_add_u32_e32 v7, v10, v7
	v_mul_lo_u32 v14, s2, v1
	v_add_u32_e32 v7, v7, v11
	v_mul_hi_u32 v10, v1, v14
	v_mul_hi_u32 v13, v1, v7
	v_mul_lo_u32 v12, v1, v7
	v_mov_b32_e32 v11, v6
	v_lshl_add_u64 v[10:11], v[10:11], 0, v[12:13]
	v_mul_hi_u32 v13, v3, v14
	v_mul_lo_u32 v14, v3, v14
	v_add_co_u32_e32 v10, vcc, v10, v14
	v_mul_hi_u32 v12, v3, v7
	s_nop 0
	v_addc_co_u32_e32 v10, vcc, v11, v13, vcc
	v_mov_b32_e32 v11, v6
	s_nop 0
	v_addc_co_u32_e32 v13, vcc, 0, v12, vcc
	v_mul_lo_u32 v12, v3, v7
	v_lshl_add_u64 v[10:11], v[10:11], 0, v[12:13]
	v_add_co_u32_e32 v1, vcc, v1, v10
	v_mul_hi_u32 v10, s2, v1
	s_nop 0
	v_addc_co_u32_e32 v3, vcc, v3, v11, vcc
	v_mul_lo_u32 v7, s2, v3
	v_add_u32_e32 v7, v10, v7
	v_mul_lo_u32 v10, s3, v1
	v_add_u32_e32 v7, v7, v10
	v_mul_lo_u32 v12, s2, v1
	v_mul_hi_u32 v15, v3, v12
	v_mul_lo_u32 v16, v3, v12
	v_mul_hi_u32 v11, v1, v7
	;; [unrolled: 2-line block ×3, first 2 shown]
	v_mov_b32_e32 v13, v6
	v_lshl_add_u64 v[10:11], v[12:13], 0, v[10:11]
	v_add_co_u32_e32 v10, vcc, v10, v16
	v_mul_hi_u32 v14, v3, v7
	s_nop 0
	v_addc_co_u32_e32 v10, vcc, v11, v15, vcc
	v_mul_lo_u32 v12, v3, v7
	s_nop 0
	v_addc_co_u32_e32 v13, vcc, 0, v14, vcc
	v_mov_b32_e32 v11, v6
	v_lshl_add_u64 v[10:11], v[10:11], 0, v[12:13]
	v_add_co_u32_e32 v1, vcc, v1, v10
	v_mul_hi_u32 v12, v8, v1
	s_nop 0
	v_addc_co_u32_e32 v3, vcc, v3, v11, vcc
	v_mad_u64_u32 v[10:11], s[2:3], v8, v3, 0
	v_mov_b32_e32 v13, v6
	v_lshl_add_u64 v[10:11], v[12:13], 0, v[10:11]
	v_mad_u64_u32 v[14:15], s[2:3], v9, v1, 0
	v_add_co_u32_e32 v1, vcc, v10, v14
	v_mad_u64_u32 v[12:13], s[2:3], v9, v3, 0
	s_nop 0
	v_addc_co_u32_e32 v10, vcc, v11, v15, vcc
	v_mov_b32_e32 v11, v6
	s_nop 0
	v_addc_co_u32_e32 v13, vcc, 0, v13, vcc
	v_lshl_add_u64 v[10:11], v[10:11], 0, v[12:13]
	v_mul_lo_u32 v1, s19, v10
	v_mul_lo_u32 v3, s18, v11
	v_mad_u64_u32 v[12:13], s[2:3], s18, v10, 0
	v_add3_u32 v1, v13, v3, v1
	v_sub_u32_e32 v3, v9, v1
	v_mov_b32_e32 v7, s19
	v_sub_co_u32_e32 v16, vcc, v8, v12
	v_lshl_add_u64 v[14:15], v[10:11], 0, 1
	s_nop 0
	v_subb_co_u32_e64 v3, s[2:3], v3, v7, vcc
	v_subrev_co_u32_e64 v7, s[2:3], s18, v16
	v_subb_co_u32_e32 v1, vcc, v9, v1, vcc
	s_nop 0
	v_subbrev_co_u32_e64 v3, s[2:3], 0, v3, s[2:3]
	v_cmp_le_u32_e64 s[2:3], s19, v3
	v_cmp_le_u32_e32 vcc, s19, v1
	s_nop 0
	v_cndmask_b32_e64 v12, 0, -1, s[2:3]
	v_cmp_le_u32_e64 s[2:3], s18, v7
	s_nop 1
	v_cndmask_b32_e64 v7, 0, -1, s[2:3]
	v_cmp_eq_u32_e64 s[2:3], s19, v3
	s_nop 1
	v_cndmask_b32_e64 v3, v12, v7, s[2:3]
	v_lshl_add_u64 v[12:13], v[10:11], 0, 2
	v_cmp_ne_u32_e64 s[2:3], 0, v3
	v_cndmask_b32_e64 v7, 0, -1, vcc
	v_cmp_le_u32_e32 vcc, s18, v16
	v_cndmask_b32_e64 v3, v15, v13, s[2:3]
	s_nop 0
	v_cndmask_b32_e64 v13, 0, -1, vcc
	v_cmp_eq_u32_e32 vcc, s19, v1
	s_nop 1
	v_cndmask_b32_e32 v1, v7, v13, vcc
	v_cmp_ne_u32_e32 vcc, 0, v1
	v_cndmask_b32_e64 v1, v14, v12, s[2:3]
	s_nop 0
	v_cndmask_b32_e32 v11, v11, v3, vcc
	v_cndmask_b32_e32 v10, v10, v1, vcc
.LBB0_4:                                ;   in Loop: Header=BB0_2 Depth=1
	s_andn2_saveexec_b64 s[2:3], s[20:21]
	s_cbranch_execz .LBB0_6
; %bb.5:                                ;   in Loop: Header=BB0_2 Depth=1
	v_cvt_f32_u32_e32 v1, s18
	s_sub_i32 s20, 0, s18
	v_mov_b32_e32 v11, v6
	v_rcp_iflag_f32_e32 v1, v1
	s_nop 0
	v_mul_f32_e32 v1, 0x4f7ffffe, v1
	v_cvt_u32_f32_e32 v1, v1
	v_mul_lo_u32 v3, s20, v1
	v_mul_hi_u32 v3, v1, v3
	v_add_u32_e32 v1, v1, v3
	v_mul_hi_u32 v1, v8, v1
	v_mul_lo_u32 v3, v1, s18
	v_sub_u32_e32 v3, v8, v3
	v_add_u32_e32 v7, 1, v1
	v_subrev_u32_e32 v10, s18, v3
	v_cmp_le_u32_e32 vcc, s18, v3
	s_nop 1
	v_cndmask_b32_e32 v3, v3, v10, vcc
	v_cndmask_b32_e32 v1, v1, v7, vcc
	v_add_u32_e32 v7, 1, v1
	v_cmp_le_u32_e32 vcc, s18, v3
	s_nop 1
	v_cndmask_b32_e32 v10, v1, v7, vcc
.LBB0_6:                                ;   in Loop: Header=BB0_2 Depth=1
	s_or_b64 exec, exec, s[2:3]
	v_mad_u64_u32 v[12:13], s[2:3], v10, s18, 0
	s_load_dwordx2 s[2:3], s[12:13], 0x0
	s_add_u32 s14, s14, 1
	v_mul_lo_u32 v1, v11, s18
	v_mul_lo_u32 v3, v10, s19
	s_addc_u32 s15, s15, 0
	v_add3_u32 v1, v13, v3, v1
	v_sub_co_u32_e32 v3, vcc, v8, v12
	s_add_u32 s12, s12, 8
	s_nop 0
	v_subb_co_u32_e32 v1, vcc, v9, v1, vcc
	s_addc_u32 s13, s13, 0
	v_mov_b64_e32 v[8:9], s[6:7]
	s_waitcnt lgkmcnt(0)
	v_mul_lo_u32 v1, s2, v1
	v_mul_lo_u32 v7, s3, v3
	v_mad_u64_u32 v[4:5], s[2:3], s2, v3, v[4:5]
	s_add_u32 s16, s16, 8
	v_cmp_ge_u64_e32 vcc, s[14:15], v[8:9]
	v_add3_u32 v5, v7, v5, v1
	s_addc_u32 s17, s17, 0
	s_cbranch_vccnz .LBB0_8
; %bb.7:                                ;   in Loop: Header=BB0_2 Depth=1
	v_mov_b64_e32 v[8:9], v[10:11]
	s_branch .LBB0_2
.LBB0_8:
	s_lshl_b64 s[2:3], s[6:7], 3
	s_add_u32 s2, s10, s2
	s_addc_u32 s3, s11, s3
	s_load_dwordx2 s[6:7], s[2:3], 0x0
	s_load_dwordx2 s[10:11], s[0:1], 0x20
	s_waitcnt lgkmcnt(0)
	v_mad_u64_u32 v[4:5], s[0:1], s6, v10, v[4:5]
	v_mul_lo_u32 v1, s6, v11
	v_mul_lo_u32 v3, s7, v10
	s_mov_b32 s0, 0xcccccccd
	v_add3_u32 v5, v3, v5, v1
	v_mul_hi_u32 v1, v2, s0
	v_lshrrev_b32_e32 v1, 3, v1
	v_mul_lo_u32 v1, v1, 10
	s_mov_b32 s0, 0x15555556
	v_sub_u32_e32 v1, v2, v1
	v_mul_hi_u32 v2, v0, s0
	v_mul_u32_u24_e32 v1, 0x91, v1
	v_mul_u32_u24_e32 v2, 12, v2
	v_cmp_gt_u64_e32 vcc, s[10:11], v[10:11]
	v_sub_u32_e32 v26, v0, v2
	v_lshl_add_u64 v[24:25], v[4:5], 4, s[8:9]
	v_lshlrev_b32_e32 v32, 4, v1
	s_and_saveexec_b64 s[2:3], vcc
	s_cbranch_execz .LBB0_12
; %bb.9:
	v_mov_b32_e32 v27, 0
	v_lshl_add_u64 v[22:23], v[26:27], 4, v[24:25]
	global_load_dwordx4 v[2:5], v[22:23], off
	global_load_dwordx4 v[6:9], v[22:23], off offset:192
	global_load_dwordx4 v[10:13], v[22:23], off offset:384
	;; [unrolled: 1-line block ×11, first 2 shown]
	v_lshlrev_b32_e32 v0, 4, v26
	v_add3_u32 v0, 0, v32, v0
	v_cmp_eq_u32_e64 s[0:1], 11, v26
	s_waitcnt vmcnt(11)
	ds_write_b128 v0, v[2:5]
	s_waitcnt vmcnt(10)
	ds_write_b128 v0, v[6:9] offset:192
	s_waitcnt vmcnt(9)
	ds_write_b128 v0, v[10:13] offset:384
	;; [unrolled: 2-line block ×11, first 2 shown]
	s_and_saveexec_b64 s[6:7], s[0:1]
	s_cbranch_execz .LBB0_11
; %bb.10:
	global_load_dwordx4 v[2:5], v[24:25], off offset:2304
	v_mov_b32_e32 v26, 11
	s_waitcnt vmcnt(0)
	ds_write_b128 v0, v[2:5] offset:2128
.LBB0_11:
	s_or_b64 exec, exec, s[6:7]
.LBB0_12:
	s_or_b64 exec, exec, s[2:3]
	v_lshl_add_u32 v30, v1, 4, 0
	v_lshlrev_b32_e32 v11, 4, v26
	v_add_u32_e32 v31, v30, v11
	s_waitcnt lgkmcnt(0)
	s_barrier
	v_sub_u32_e32 v10, v30, v11
	ds_read_b64 v[6:7], v31
	ds_read_b64 v[8:9], v10 offset:2304
	v_cmp_ne_u32_e64 s[0:1], 0, v26
                                        ; implicit-def: $vgpr4_vgpr5
	s_waitcnt lgkmcnt(0)
	v_add_f64 v[0:1], v[6:7], v[8:9]
	v_add_f64 v[2:3], v[6:7], -v[8:9]
	s_and_saveexec_b64 s[2:3], s[0:1]
	s_xor_b64 s[0:1], exec, s[2:3]
	s_cbranch_execz .LBB0_14
; %bb.13:
	v_mov_b32_e32 v27, 0
	v_lshl_add_u64 v[0:1], v[26:27], 4, s[4:5]
	global_load_dwordx4 v[12:15], v[0:1], off offset:2208
	ds_read_b64 v[0:1], v10 offset:2312
	ds_read_b64 v[2:3], v31 offset:8
	v_add_f64 v[4:5], v[6:7], v[8:9]
	v_add_f64 v[8:9], v[6:7], -v[8:9]
	s_waitcnt lgkmcnt(0)
	v_add_f64 v[16:17], v[0:1], v[2:3]
	v_add_f64 v[0:1], v[2:3], -v[0:1]
	s_waitcnt vmcnt(0)
	v_fma_f64 v[18:19], v[8:9], v[14:15], v[4:5]
	v_fma_f64 v[4:5], -v[8:9], v[14:15], v[4:5]
	v_fma_f64 v[6:7], v[16:17], v[14:15], -v[0:1]
	v_fma_f64 v[2:3], v[16:17], v[14:15], v[0:1]
	v_fmac_f64_e32 v[4:5], v[16:17], v[12:13]
	v_fmac_f64_e32 v[6:7], v[8:9], v[12:13]
	v_fma_f64 v[0:1], -v[16:17], v[12:13], v[18:19]
	v_fmac_f64_e32 v[2:3], v[8:9], v[12:13]
	ds_write_b128 v10, v[4:7] offset:2304
	v_mov_b64_e32 v[4:5], v[26:27]
.LBB0_14:
	s_andn2_saveexec_b64 s[0:1], s[0:1]
	s_cbranch_execz .LBB0_16
; %bb.15:
	ds_read_b128 v[4:7], v30 offset:1152
	s_waitcnt lgkmcnt(0)
	v_add_f64 v[4:5], v[4:5], v[4:5]
	v_mul_f64 v[6:7], v[6:7], -2.0
	ds_write_b128 v30, v[4:7] offset:1152
	v_mov_b64_e32 v[4:5], 0
.LBB0_16:
	s_or_b64 exec, exec, s[0:1]
	s_add_u32 s0, s4, 0x8a0
	s_addc_u32 s1, s5, 0
	v_lshl_add_u64 v[8:9], v[4:5], 4, s[0:1]
	global_load_dwordx4 v[4:7], v[8:9], off offset:192
	global_load_dwordx4 v[12:15], v[8:9], off offset:384
	;; [unrolled: 1-line block ×4, first 2 shown]
	ds_write_b128 v31, v[0:3]
	ds_read_b128 v[0:3], v31 offset:192
	ds_read_b128 v[34:37], v10 offset:2112
	global_load_dwordx4 v[38:41], v[8:9], off offset:960
	v_add3_u32 v27, 0, v11, v32
	s_mov_b32 s2, 0xe8584caa
	s_mov_b32 s3, 0xbfebb67a
	s_waitcnt lgkmcnt(0)
	v_add_f64 v[8:9], v[0:1], v[34:35]
	v_add_f64 v[28:29], v[36:37], v[2:3]
	v_add_f64 v[42:43], v[0:1], -v[34:35]
	v_add_f64 v[0:1], v[2:3], -v[36:37]
	s_mov_b32 s7, 0x3febb67a
	s_mov_b32 s6, s2
	s_movk_i32 s0, 0x50
	s_waitcnt vmcnt(4)
	v_fma_f64 v[44:45], v[42:43], v[6:7], v[8:9]
	v_fma_f64 v[2:3], v[28:29], v[6:7], v[0:1]
	v_fma_f64 v[34:35], -v[42:43], v[6:7], v[8:9]
	v_fma_f64 v[36:37], v[28:29], v[6:7], -v[0:1]
	v_fma_f64 v[0:1], -v[28:29], v[4:5], v[44:45]
	v_fmac_f64_e32 v[2:3], v[42:43], v[4:5]
	v_fmac_f64_e32 v[34:35], v[28:29], v[4:5]
	v_fmac_f64_e32 v[36:37], v[42:43], v[4:5]
	ds_write_b128 v31, v[0:3] offset:192
	ds_write_b128 v10, v[34:37] offset:2112
	ds_read_b128 v[0:3], v31 offset:384
	ds_read_b128 v[4:7], v10 offset:1920
	s_waitcnt lgkmcnt(0)
	v_add_f64 v[8:9], v[0:1], v[4:5]
	v_add_f64 v[28:29], v[6:7], v[2:3]
	v_add_f64 v[34:35], v[0:1], -v[4:5]
	v_add_f64 v[0:1], v[2:3], -v[6:7]
	s_waitcnt vmcnt(3)
	v_fma_f64 v[36:37], v[34:35], v[14:15], v[8:9]
	v_fma_f64 v[2:3], v[28:29], v[14:15], v[0:1]
	v_fma_f64 v[4:5], -v[34:35], v[14:15], v[8:9]
	v_fma_f64 v[6:7], v[28:29], v[14:15], -v[0:1]
	v_fma_f64 v[0:1], -v[28:29], v[12:13], v[36:37]
	v_fmac_f64_e32 v[2:3], v[34:35], v[12:13]
	v_fmac_f64_e32 v[4:5], v[28:29], v[12:13]
	v_fmac_f64_e32 v[6:7], v[34:35], v[12:13]
	ds_write_b128 v31, v[0:3] offset:384
	ds_write_b128 v10, v[4:7] offset:1920
	ds_read_b128 v[0:3], v31 offset:576
	ds_read_b128 v[4:7], v10 offset:1728
	s_waitcnt lgkmcnt(0)
	v_add_f64 v[8:9], v[0:1], v[4:5]
	v_add_f64 v[12:13], v[6:7], v[2:3]
	v_add_f64 v[14:15], v[0:1], -v[4:5]
	v_add_f64 v[0:1], v[2:3], -v[6:7]
	;; [unrolled: 18-line block ×4, first 2 shown]
	s_waitcnt vmcnt(0)
	v_fma_f64 v[16:17], v[14:15], v[40:41], v[8:9]
	v_fma_f64 v[2:3], v[12:13], v[40:41], v[0:1]
	v_fma_f64 v[4:5], -v[14:15], v[40:41], v[8:9]
	v_fma_f64 v[6:7], v[12:13], v[40:41], -v[0:1]
	v_fma_f64 v[0:1], -v[12:13], v[38:39], v[16:17]
	v_fmac_f64_e32 v[2:3], v[14:15], v[38:39]
	v_fmac_f64_e32 v[4:5], v[12:13], v[38:39]
	;; [unrolled: 1-line block ×3, first 2 shown]
	ds_write_b128 v31, v[0:3] offset:960
	ds_write_b128 v10, v[4:7] offset:1344
	s_waitcnt lgkmcnt(0)
	s_barrier
	s_barrier
	ds_read_b128 v[0:3], v31
	ds_read_b128 v[4:7], v27 offset:192
	ds_read_b128 v[8:11], v27 offset:384
	;; [unrolled: 1-line block ×11, first 2 shown]
	s_waitcnt lgkmcnt(7)
	v_add_f64 v[62:63], v[2:3], v[18:19]
	s_waitcnt lgkmcnt(3)
	v_add_f64 v[60:61], v[18:19], -v[44:45]
	v_add_f64 v[18:19], v[18:19], v[44:45]
	v_add_f64 v[28:29], v[0:1], v[16:17]
	;; [unrolled: 1-line block ×3, first 2 shown]
	v_add_f64 v[16:17], v[16:17], -v[42:43]
	s_waitcnt lgkmcnt(1)
	v_add_f64 v[66:67], v[34:35], v[50:51]
	v_fmac_f64_e32 v[2:3], -0.5, v[18:19]
	v_add_f64 v[64:65], v[8:9], v[34:35]
	v_fmac_f64_e32 v[0:1], -0.5, v[58:59]
	v_fmac_f64_e32 v[8:9], -0.5, v[66:67]
	v_fma_f64 v[58:59], s[6:7], v[16:17], v[2:3]
	v_fmac_f64_e32 v[2:3], s[2:3], v[16:17]
	v_add_f64 v[16:17], v[36:37], -v[52:53]
	v_add_f64 v[28:29], v[28:29], v[42:43]
	v_add_f64 v[42:43], v[62:63], v[44:45]
	v_fma_f64 v[44:45], s[2:3], v[60:61], v[0:1]
	v_fmac_f64_e32 v[0:1], s[6:7], v[60:61]
	v_fma_f64 v[60:61], s[2:3], v[16:17], v[8:9]
	v_fmac_f64_e32 v[8:9], s[6:7], v[16:17]
	v_add_f64 v[16:17], v[10:11], v[36:37]
	v_add_f64 v[18:19], v[36:37], v[52:53]
	v_fmac_f64_e32 v[10:11], -0.5, v[18:19]
	v_add_f64 v[36:37], v[16:17], v[52:53]
	v_add_f64 v[16:17], v[34:35], -v[50:51]
	v_add_f64 v[18:19], v[64:65], v[50:51]
	v_fma_f64 v[50:51], s[6:7], v[16:17], v[10:11]
	v_fmac_f64_e32 v[10:11], s[2:3], v[16:17]
	v_mul_f64 v[62:63], v[10:11], s[2:3]
	v_mul_f64 v[64:65], v[10:11], -0.5
	v_fmac_f64_e32 v[62:63], -0.5, v[8:9]
	v_fmac_f64_e32 v[64:65], s[6:7], v[8:9]
	v_add_f64 v[8:9], v[28:29], v[18:19]
	v_mul_f64 v[52:53], v[50:51], s[2:3]
	v_add_f64 v[16:17], v[28:29], -v[18:19]
	v_mul_f64 v[28:29], v[50:51], 0.5
	v_fmac_f64_e32 v[52:53], 0.5, v[60:61]
	v_fmac_f64_e32 v[28:29], s[6:7], v[60:61]
	v_add_f64 v[10:11], v[42:43], v[36:37]
	v_add_f64 v[18:19], v[42:43], -v[36:37]
	v_add_f64 v[34:35], v[44:45], v[52:53]
	v_add_f64 v[36:37], v[58:59], v[28:29]
	v_add_f64 v[42:43], v[44:45], -v[52:53]
	v_add_f64 v[44:45], v[58:59], -v[28:29]
	v_add_f64 v[58:59], v[20:21], v[46:47]
	v_add_f64 v[28:29], v[4:5], v[20:21]
	v_fmac_f64_e32 v[4:5], -0.5, v[58:59]
	v_add_f64 v[58:59], v[22:23], -v[48:49]
	v_fma_f64 v[60:61], s[2:3], v[58:59], v[4:5]
	v_fmac_f64_e32 v[4:5], s[6:7], v[58:59]
	v_add_f64 v[58:59], v[6:7], v[22:23]
	v_add_f64 v[22:23], v[22:23], v[48:49]
	v_fmac_f64_e32 v[6:7], -0.5, v[22:23]
	v_add_f64 v[22:23], v[28:29], v[46:47]
	v_add_f64 v[20:21], v[20:21], -v[46:47]
	s_waitcnt lgkmcnt(0)
	v_add_f64 v[46:47], v[38:39], v[54:55]
	v_add_f64 v[28:29], v[58:59], v[48:49]
	v_fma_f64 v[48:49], s[6:7], v[20:21], v[6:7]
	v_fmac_f64_e32 v[6:7], s[2:3], v[20:21]
	v_add_f64 v[20:21], v[12:13], v[38:39]
	v_fmac_f64_e32 v[12:13], -0.5, v[46:47]
	v_add_f64 v[46:47], v[40:41], -v[56:57]
	v_fma_f64 v[58:59], s[2:3], v[46:47], v[12:13]
	v_fmac_f64_e32 v[12:13], s[6:7], v[46:47]
	v_add_f64 v[46:47], v[14:15], v[40:41]
	v_add_f64 v[40:41], v[40:41], v[56:57]
	v_fmac_f64_e32 v[14:15], -0.5, v[40:41]
	v_add_f64 v[38:39], v[38:39], -v[54:55]
	v_add_f64 v[40:41], v[46:47], v[56:57]
	v_fma_f64 v[46:47], s[6:7], v[38:39], v[14:15]
	v_fmac_f64_e32 v[14:15], s[2:3], v[38:39]
	v_add_f64 v[50:51], v[0:1], v[62:63]
	v_add_f64 v[52:53], v[2:3], v[64:65]
	v_add_f64 v[0:1], v[0:1], -v[62:63]
	v_add_f64 v[2:3], v[2:3], -v[64:65]
	v_add_f64 v[20:21], v[20:21], v[54:55]
	v_mul_f64 v[62:63], v[14:15], s[2:3]
	v_mul_f64 v[64:65], v[14:15], -0.5
	v_fmac_f64_e32 v[62:63], -0.5, v[12:13]
	v_fmac_f64_e32 v[64:65], s[6:7], v[12:13]
	v_add_f64 v[12:13], v[22:23], v[20:21]
	v_mul_f64 v[54:55], v[46:47], s[2:3]
	v_add_f64 v[14:15], v[28:29], v[40:41]
	v_add_f64 v[20:21], v[22:23], -v[20:21]
	v_add_f64 v[22:23], v[28:29], -v[40:41]
	v_mul_f64 v[28:29], v[46:47], 0.5
	v_fmac_f64_e32 v[54:55], 0.5, v[58:59]
	v_fmac_f64_e32 v[28:29], s[6:7], v[58:59]
	v_mad_u32_u24 v58, v26, s0, v27
	v_add_f64 v[38:39], v[60:61], v[54:55]
	v_add_f64 v[40:41], v[48:49], v[28:29]
	v_add_f64 v[46:47], v[60:61], -v[54:55]
	v_add_f64 v[48:49], v[48:49], -v[28:29]
	v_add_f64 v[54:55], v[4:5], v[62:63]
	v_add_f64 v[56:57], v[6:7], v[64:65]
	v_add_f64 v[4:5], v[4:5], -v[62:63]
	v_add_f64 v[6:7], v[6:7], -v[64:65]
	s_barrier
	ds_write_b128 v58, v[8:11]
	ds_write_b128 v58, v[34:37] offset:16
	ds_write_b128 v58, v[50:53] offset:32
	;; [unrolled: 1-line block ×11, first 2 shown]
	v_add_u32_e32 v0, -6, v26
	v_cmp_gt_u32_e64 s[0:1], 6, v26
	v_mov_b32_e32 v29, 0
	s_waitcnt lgkmcnt(0)
	v_cndmask_b32_e64 v33, v0, v26, s[0:1]
	v_mul_i32_i24_e32 v28, 5, v33
	v_lshl_add_u64 v[16:17], v[28:29], 4, s[4:5]
	s_barrier
	global_load_dwordx4 v[12:15], v[16:17], off
	global_load_dwordx4 v[8:11], v[16:17], off offset:16
	global_load_dwordx4 v[4:7], v[16:17], off offset:32
	;; [unrolled: 1-line block ×3, first 2 shown]
	v_add_u16_e32 v20, 12, v26
	s_movk_i32 s0, 0xab
	v_mul_lo_u16_sdwa v18, v20, s0 dst_sel:DWORD dst_unused:UNUSED_PAD src0_sel:BYTE_0 src1_sel:DWORD
	v_lshrrev_b16_e32 v88, 10, v18
	global_load_dwordx4 v[16:19], v[16:17], off offset:64
	v_mul_lo_u16_e32 v21, 6, v88
	v_sub_u16_e32 v89, v20, v21
	v_mov_b32_e32 v20, 5
	v_mul_u32_u24_sdwa v20, v89, v20 dst_sel:DWORD dst_unused:UNUSED_PAD src0_sel:BYTE_0 src1_sel:DWORD
	v_lshlrev_b32_e32 v28, 4, v20
	global_load_dwordx4 v[20:23], v28, s[4:5]
	global_load_dwordx4 v[34:37], v28, s[4:5] offset:16
	global_load_dwordx4 v[38:41], v28, s[4:5] offset:32
	;; [unrolled: 1-line block ×4, first 2 shown]
	s_movk_i32 s0, 0xffb0
	v_mad_i32_i24 v28, v26, s0, v58
	ds_read_b128 v[50:53], v28 offset:384
	ds_read_b128 v[54:57], v27 offset:768
	;; [unrolled: 1-line block ×4, first 2 shown]
	v_cmp_lt_u32_e64 s[0:1], 5, v26
	v_lshlrev_b32_e32 v33, 4, v33
	s_waitcnt vmcnt(9) lgkmcnt(3)
	v_mul_f64 v[66:67], v[52:53], v[14:15]
	v_mul_f64 v[14:15], v[50:51], v[14:15]
	s_waitcnt vmcnt(8) lgkmcnt(2)
	v_mul_f64 v[70:71], v[56:57], v[10:11]
	v_mul_f64 v[10:11], v[54:55], v[10:11]
	v_fmac_f64_e32 v[66:67], v[50:51], v[12:13]
	v_fma_f64 v[68:69], v[52:53], v[12:13], -v[14:15]
	v_fmac_f64_e32 v[70:71], v[54:55], v[8:9]
	v_fma_f64 v[54:55], v[56:57], v[8:9], -v[10:11]
	ds_read_b128 v[8:11], v27 offset:1344
	ds_read_b128 v[50:53], v27 offset:1536
	;; [unrolled: 1-line block ×3, first 2 shown]
	s_waitcnt vmcnt(6) lgkmcnt(1)
	v_mul_f64 v[74:75], v[52:53], v[2:3]
	v_mul_f64 v[2:3], v[50:51], v[2:3]
	v_fmac_f64_e32 v[74:75], v[50:51], v[0:1]
	v_fma_f64 v[76:77], v[52:53], v[0:1], -v[2:3]
	ds_read_b128 v[50:53], v27 offset:576
	s_waitcnt lgkmcnt(1)
	v_mul_f64 v[56:57], v[14:15], v[6:7]
	v_mul_f64 v[6:7], v[12:13], v[6:7]
	v_fmac_f64_e32 v[56:57], v[12:13], v[4:5]
	v_fma_f64 v[72:73], v[14:15], v[4:5], -v[6:7]
	ds_read_b128 v[4:7], v27 offset:1728
	ds_read_b128 v[12:15], v27 offset:1920
	;; [unrolled: 1-line block ×3, first 2 shown]
	s_waitcnt vmcnt(5) lgkmcnt(1)
	v_mul_f64 v[78:79], v[14:15], v[18:19]
	v_fmac_f64_e32 v[78:79], v[12:13], v[16:17]
	v_mul_f64 v[12:13], v[12:13], v[18:19]
	v_fma_f64 v[16:17], v[14:15], v[16:17], -v[12:13]
	ds_read_b128 v[12:15], v31
	s_waitcnt vmcnt(4)
	v_mul_f64 v[18:19], v[52:53], v[22:23]
	v_fmac_f64_e32 v[18:19], v[50:51], v[20:21]
	v_mul_f64 v[22:23], v[50:51], v[22:23]
	s_waitcnt vmcnt(1)
	v_mul_f64 v[50:51], v[6:7], v[44:45]
	v_fma_f64 v[20:21], v[52:53], v[20:21], -v[22:23]
	v_mul_f64 v[22:23], v[60:61], v[36:37]
	v_mul_f64 v[36:37], v[58:59], v[36:37]
	v_fmac_f64_e32 v[50:51], v[4:5], v[42:43]
	v_mul_f64 v[4:5], v[4:5], v[44:45]
	s_waitcnt vmcnt(0) lgkmcnt(1)
	v_mul_f64 v[44:45], v[2:3], v[48:49]
	v_fmac_f64_e32 v[22:23], v[58:59], v[34:35]
	v_fma_f64 v[34:35], v[60:61], v[34:35], -v[36:37]
	v_mul_f64 v[36:37], v[10:11], v[40:41]
	v_fmac_f64_e32 v[44:45], v[0:1], v[46:47]
	v_mul_f64 v[0:1], v[0:1], v[48:49]
	v_fmac_f64_e32 v[36:37], v[8:9], v[38:39]
	v_mul_f64 v[8:9], v[8:9], v[40:41]
	v_fma_f64 v[46:47], v[2:3], v[46:47], -v[0:1]
	v_add_f64 v[0:1], v[70:71], v[74:75]
	v_fma_f64 v[8:9], v[10:11], v[38:39], -v[8:9]
	s_waitcnt lgkmcnt(0)
	v_add_f64 v[38:39], v[12:13], v[70:71]
	v_fmac_f64_e32 v[12:13], -0.5, v[0:1]
	v_add_f64 v[0:1], v[54:55], -v[76:77]
	v_fma_f64 v[40:41], s[2:3], v[0:1], v[12:13]
	v_fmac_f64_e32 v[12:13], s[6:7], v[0:1]
	v_add_f64 v[0:1], v[54:55], v[76:77]
	v_add_f64 v[48:49], v[14:15], v[54:55]
	v_fmac_f64_e32 v[14:15], -0.5, v[0:1]
	v_add_f64 v[0:1], v[70:71], -v[74:75]
	v_fma_f64 v[52:53], s[6:7], v[0:1], v[14:15]
	v_fmac_f64_e32 v[14:15], s[2:3], v[0:1]
	v_add_f64 v[0:1], v[56:57], v[78:79]
	;; [unrolled: 6-line block ×3, first 2 shown]
	v_add_f64 v[60:61], v[68:69], v[72:73]
	v_fmac_f64_e32 v[68:69], -0.5, v[0:1]
	v_add_f64 v[0:1], v[56:57], -v[78:79]
	v_fma_f64 v[56:57], s[6:7], v[0:1], v[68:69]
	v_fmac_f64_e32 v[68:69], s[2:3], v[0:1]
	v_fma_f64 v[42:43], v[6:7], v[42:43], -v[4:5]
	v_mul_f64 v[4:5], v[68:69], s[2:3]
	v_mul_f64 v[6:7], v[68:69], -0.5
	v_add_f64 v[10:11], v[22:23], v[50:51]
	v_fmac_f64_e32 v[4:5], -0.5, v[66:67]
	v_fmac_f64_e32 v[6:7], s[6:7], v[66:67]
	v_add_f64 v[66:67], v[62:63], v[22:23]
	v_fmac_f64_e32 v[62:63], -0.5, v[10:11]
	v_add_f64 v[10:11], v[34:35], -v[42:43]
	v_fma_f64 v[68:69], s[2:3], v[10:11], v[62:63]
	v_fmac_f64_e32 v[62:63], s[6:7], v[10:11]
	v_add_f64 v[10:11], v[34:35], v[42:43]
	v_add_f64 v[70:71], v[64:65], v[34:35]
	v_fmac_f64_e32 v[64:65], -0.5, v[10:11]
	v_add_f64 v[10:11], v[22:23], -v[50:51]
	v_fma_f64 v[72:73], s[6:7], v[10:11], v[64:65]
	v_fmac_f64_e32 v[64:65], s[2:3], v[10:11]
	v_add_f64 v[10:11], v[36:37], v[44:45]
	v_add_f64 v[80:81], v[18:19], v[36:37]
	v_fmac_f64_e32 v[18:19], -0.5, v[10:11]
	v_add_f64 v[10:11], v[8:9], -v[46:47]
	v_add_f64 v[84:85], v[20:21], v[8:9]
	v_add_f64 v[8:9], v[8:9], v[46:47]
	v_fmac_f64_e32 v[20:21], -0.5, v[8:9]
	v_add_f64 v[8:9], v[36:37], -v[44:45]
	v_fma_f64 v[86:87], s[6:7], v[8:9], v[20:21]
	v_fmac_f64_e32 v[20:21], s[2:3], v[8:9]
	v_add_f64 v[0:1], v[12:13], v[4:5]
	v_add_f64 v[2:3], v[14:15], v[6:7]
	v_add_f64 v[4:5], v[12:13], -v[4:5]
	v_add_f64 v[6:7], v[14:15], -v[6:7]
	v_mul_f64 v[12:13], v[20:21], s[2:3]
	v_mul_f64 v[14:15], v[20:21], -0.5
	v_add_f64 v[20:21], v[38:39], v[74:75]
	v_add_f64 v[22:23], v[48:49], v[76:77]
	v_mul_f64 v[38:39], v[56:57], s[2:3]
	v_mul_f64 v[48:49], v[56:57], 0.5
	v_fmac_f64_e32 v[38:39], 0.5, v[58:59]
	v_fmac_f64_e32 v[48:49], s[6:7], v[58:59]
	v_mov_b32_e32 v58, 0x240
	v_cndmask_b32_e64 v58, 0, v58, s[0:1]
	v_fma_f64 v[82:83], s[2:3], v[10:11], v[18:19]
	v_fmac_f64_e32 v[18:19], s[6:7], v[10:11]
	v_add_f64 v[34:35], v[54:55], v[78:79]
	v_add_f64 v[36:37], v[60:61], v[16:17]
	v_add_u32_e32 v58, 0, v58
	v_fmac_f64_e32 v[12:13], -0.5, v[18:19]
	v_fmac_f64_e32 v[14:15], s[6:7], v[18:19]
	v_add_f64 v[16:17], v[20:21], v[34:35]
	v_add_f64 v[18:19], v[22:23], v[36:37]
	v_add_f64 v[20:21], v[20:21], -v[34:35]
	v_add_f64 v[22:23], v[22:23], -v[36:37]
	v_add_f64 v[34:35], v[40:41], v[38:39]
	v_add_f64 v[36:37], v[52:53], v[48:49]
	v_add_f64 v[38:39], v[40:41], -v[38:39]
	v_add_f64 v[40:41], v[52:53], -v[48:49]
	v_add_f64 v[48:49], v[66:67], v[50:51]
	v_add_f64 v[50:51], v[70:71], v[42:43]
	;; [unrolled: 1-line block ×4, first 2 shown]
	v_add3_u32 v33, v58, v33, v32
	v_add_f64 v[42:43], v[48:49], v[52:53]
	v_add_f64 v[44:45], v[50:51], v[54:55]
	v_add_f64 v[46:47], v[48:49], -v[52:53]
	v_add_f64 v[48:49], v[50:51], -v[54:55]
	v_mul_f64 v[54:55], v[86:87], s[2:3]
	s_barrier
	s_movk_i32 s2, 0x240
	ds_write_b128 v33, v[16:19]
	ds_write_b128 v33, v[34:37] offset:96
	ds_write_b128 v33, v[0:3] offset:192
	;; [unrolled: 1-line block ×5, first 2 shown]
	v_mov_b32_e32 v1, 4
	v_mul_f64 v[56:57], v[86:87], 0.5
	v_mad_u32_u24 v0, v88, s2, 0
	v_lshlrev_b32_sdwa v1, v1, v89 dst_sel:DWORD dst_unused:UNUSED_PAD src0_sel:DWORD src1_sel:BYTE_0
	v_fmac_f64_e32 v[54:55], 0.5, v[82:83]
	v_fmac_f64_e32 v[56:57], s[6:7], v[82:83]
	v_add3_u32 v0, v0, v1, v32
	v_add_f64 v[8:9], v[62:63], v[12:13]
	v_add_f64 v[10:11], v[64:65], v[14:15]
	v_add_f64 v[12:13], v[62:63], -v[12:13]
	v_add_f64 v[14:15], v[64:65], -v[14:15]
	v_add_f64 v[50:51], v[68:69], v[54:55]
	v_add_f64 v[52:53], v[72:73], v[56:57]
	v_add_f64 v[54:55], v[68:69], -v[54:55]
	v_add_f64 v[56:57], v[72:73], -v[56:57]
	ds_write_b128 v0, v[42:45]
	ds_write_b128 v0, v[50:53] offset:96
	ds_write_b128 v0, v[8:11] offset:192
	;; [unrolled: 1-line block ×5, first 2 shown]
	v_mul_u32_u24_e32 v0, 3, v26
	v_lshlrev_b32_e32 v44, 4, v0
	s_waitcnt lgkmcnt(0)
	s_barrier
	global_load_dwordx4 v[0:3], v44, s[4:5] offset:480
	global_load_dwordx4 v[4:7], v44, s[4:5] offset:496
	;; [unrolled: 1-line block ×9, first 2 shown]
	ds_read_b128 v[44:47], v27 offset:576
	ds_read_b128 v[48:51], v27 offset:1152
	;; [unrolled: 1-line block ×5, first 2 shown]
	ds_read_b128 v[64:67], v31
	s_waitcnt vmcnt(8) lgkmcnt(5)
	v_mul_f64 v[68:69], v[46:47], v[2:3]
	v_mul_f64 v[2:3], v[44:45], v[2:3]
	v_fmac_f64_e32 v[68:69], v[44:45], v[0:1]
	v_fma_f64 v[44:45], v[46:47], v[0:1], -v[2:3]
	ds_read_b128 v[0:3], v27 offset:1728
	s_waitcnt vmcnt(7) lgkmcnt(5)
	v_mul_f64 v[46:47], v[50:51], v[6:7]
	v_mul_f64 v[6:7], v[48:49], v[6:7]
	v_fmac_f64_e32 v[46:47], v[48:49], v[4:5]
	v_fma_f64 v[48:49], v[50:51], v[4:5], -v[6:7]
	ds_read_b128 v[4:7], v27 offset:1536
	s_waitcnt vmcnt(6) lgkmcnt(1)
	v_mul_f64 v[50:51], v[2:3], v[10:11]
	v_fmac_f64_e32 v[50:51], v[0:1], v[8:9]
	v_mul_f64 v[0:1], v[0:1], v[10:11]
	v_fma_f64 v[70:71], v[2:3], v[8:9], -v[0:1]
	s_waitcnt vmcnt(5)
	v_mul_f64 v[72:73], v[58:59], v[14:15]
	v_mul_f64 v[0:1], v[56:57], v[14:15]
	v_fmac_f64_e32 v[72:73], v[56:57], v[12:13]
	v_fma_f64 v[56:57], v[58:59], v[12:13], -v[0:1]
	ds_read_b128 v[0:3], v27 offset:1920
	s_waitcnt vmcnt(4)
	v_mul_f64 v[58:59], v[54:55], v[18:19]
	v_mul_f64 v[8:9], v[52:53], v[18:19]
	v_fmac_f64_e32 v[58:59], v[52:53], v[16:17]
	v_fma_f64 v[52:53], v[54:55], v[16:17], -v[8:9]
	ds_read_b128 v[8:11], v27 offset:2112
	s_waitcnt vmcnt(3) lgkmcnt(1)
	v_mul_f64 v[54:55], v[2:3], v[22:23]
	v_fmac_f64_e32 v[54:55], v[0:1], v[20:21]
	v_mul_f64 v[0:1], v[0:1], v[22:23]
	v_fma_f64 v[74:75], v[2:3], v[20:21], -v[0:1]
	s_waitcnt vmcnt(2)
	v_mul_f64 v[76:77], v[62:63], v[34:35]
	v_mul_f64 v[0:1], v[60:61], v[34:35]
	v_fmac_f64_e32 v[76:77], v[60:61], v[32:33]
	v_fma_f64 v[32:33], v[62:63], v[32:33], -v[0:1]
	s_waitcnt vmcnt(1)
	v_mul_f64 v[34:35], v[6:7], v[38:39]
	v_mul_f64 v[0:1], v[4:5], v[38:39]
	v_fmac_f64_e32 v[34:35], v[4:5], v[36:37]
	v_fma_f64 v[36:37], v[6:7], v[36:37], -v[0:1]
	s_waitcnt vmcnt(0) lgkmcnt(0)
	v_mul_f64 v[38:39], v[10:11], v[42:43]
	v_mul_f64 v[0:1], v[8:9], v[42:43]
	v_fmac_f64_e32 v[38:39], v[8:9], v[40:41]
	v_fma_f64 v[40:41], v[10:11], v[40:41], -v[0:1]
	ds_read_b128 v[0:3], v28 offset:192
	ds_read_b128 v[4:7], v28 offset:384
	v_add_f64 v[20:21], v[64:65], -v[46:47]
	v_add_f64 v[22:23], v[66:67], -v[48:49]
	;; [unrolled: 1-line block ×4, first 2 shown]
	s_waitcnt lgkmcnt(1)
	v_add_f64 v[42:43], v[0:1], -v[58:59]
	v_add_f64 v[46:47], v[72:73], -v[54:55]
	v_fma_f64 v[12:13], v[64:65], 2.0, -v[20:21]
	v_fma_f64 v[14:15], v[66:67], 2.0, -v[22:23]
	;; [unrolled: 1-line block ×4, first 2 shown]
	v_add_f64 v[44:45], v[2:3], -v[52:53]
	v_fma_f64 v[0:1], v[0:1], 2.0, -v[42:43]
	v_add_f64 v[48:49], v[56:57], -v[74:75]
	v_fma_f64 v[50:51], v[72:73], 2.0, -v[46:47]
	s_waitcnt lgkmcnt(0)
	v_add_f64 v[34:35], v[4:5], -v[34:35]
	v_add_f64 v[36:37], v[6:7], -v[36:37]
	;; [unrolled: 1-line block ×6, first 2 shown]
	v_fma_f64 v[2:3], v[2:3], 2.0, -v[44:45]
	v_fma_f64 v[52:53], v[56:57], 2.0, -v[48:49]
	v_add_f64 v[50:51], v[0:1], -v[50:51]
	v_fma_f64 v[4:5], v[4:5], 2.0, -v[34:35]
	v_fma_f64 v[6:7], v[6:7], 2.0, -v[36:37]
	;; [unrolled: 1-line block ×6, first 2 shown]
	v_add_f64 v[16:17], v[20:21], v[16:17]
	v_add_f64 v[18:19], v[22:23], -v[18:19]
	v_add_f64 v[52:53], v[2:3], -v[52:53]
	v_fma_f64 v[0:1], v[0:1], 2.0, -v[50:51]
	v_add_f64 v[48:49], v[42:43], v[48:49]
	v_add_f64 v[46:47], v[44:45], -v[46:47]
	v_add_f64 v[54:55], v[4:5], -v[54:55]
	;; [unrolled: 1-line block ×3, first 2 shown]
	v_add_f64 v[40:41], v[34:35], v[40:41]
	v_add_f64 v[38:39], v[36:37], -v[38:39]
	v_fma_f64 v[20:21], v[20:21], 2.0, -v[16:17]
	v_fma_f64 v[22:23], v[22:23], 2.0, -v[18:19]
	;; [unrolled: 1-line block ×9, first 2 shown]
	s_barrier
	ds_write_b128 v27, v[12:15]
	ds_write_b128 v27, v[20:23] offset:576
	ds_write_b128 v27, v[8:11] offset:1152
	;; [unrolled: 1-line block ×4, first 2 shown]
	ds_write2_b64 v28, v[42:43], v[44:45] offset0:96 offset1:97
	ds_write2_b64 v28, v[50:51], v[52:53] offset0:168 offset1:169
	;; [unrolled: 1-line block ×3, first 2 shown]
	ds_write_b128 v28, v[4:7] offset:384
	ds_write2_b64 v28, v[34:35], v[36:37] offset0:120 offset1:121
	ds_write2_b64 v28, v[54:55], v[32:33] offset0:192 offset1:193
	v_add_u32_e32 v0, 0x800, v28
	ds_write2_b64 v0, v[40:41], v[38:39] offset0:8 offset1:9
	s_waitcnt lgkmcnt(0)
	s_barrier
	s_and_saveexec_b64 s[0:1], vcc
	s_cbranch_execz .LBB0_18
; %bb.17:
	v_lshl_add_u32 v10, v26, 4, v30
	ds_read_b128 v[0:3], v10
	ds_read_b128 v[4:7], v10 offset:192
	v_mov_b32_e32 v27, v29
	v_add_u32_e32 v28, 12, v26
	v_lshl_add_u64 v[8:9], v[26:27], 4, v[24:25]
	s_waitcnt lgkmcnt(1)
	global_store_dwordx4 v[8:9], v[0:3], off
	v_lshl_add_u64 v[8:9], v[28:29], 4, v[24:25]
	ds_read_b128 v[0:3], v10 offset:384
	s_waitcnt lgkmcnt(1)
	global_store_dwordx4 v[8:9], v[4:7], off
	ds_read_b128 v[4:7], v10 offset:576
	v_add_u32_e32 v28, 24, v26
	v_lshl_add_u64 v[8:9], v[28:29], 4, v[24:25]
	v_add_u32_e32 v28, 36, v26
	s_waitcnt lgkmcnt(1)
	global_store_dwordx4 v[8:9], v[0:3], off
	v_lshl_add_u64 v[8:9], v[28:29], 4, v[24:25]
	ds_read_b128 v[0:3], v10 offset:768
	s_waitcnt lgkmcnt(1)
	global_store_dwordx4 v[8:9], v[4:7], off
	ds_read_b128 v[4:7], v10 offset:960
	v_add_u32_e32 v28, 48, v26
	v_lshl_add_u64 v[8:9], v[28:29], 4, v[24:25]
	v_add_u32_e32 v28, 60, v26
	;; [unrolled: 10-line block ×5, first 2 shown]
	s_waitcnt lgkmcnt(1)
	global_store_dwordx4 v[8:9], v[0:3], off
	s_nop 1
	v_lshl_add_u64 v[0:1], v[28:29], 4, v[24:25]
	s_waitcnt lgkmcnt(0)
	global_store_dwordx4 v[0:1], v[4:7], off
.LBB0_18:
	s_endpgm
	.section	.rodata,"a",@progbits
	.p2align	6, 0x0
	.amdhsa_kernel fft_rtc_back_len144_factors_6_6_4_wgs_120_tpt_12_halfLds_dp_ip_CI_unitstride_sbrr_C2R_dirReg
		.amdhsa_group_segment_fixed_size 0
		.amdhsa_private_segment_fixed_size 0
		.amdhsa_kernarg_size 88
		.amdhsa_user_sgpr_count 2
		.amdhsa_user_sgpr_dispatch_ptr 0
		.amdhsa_user_sgpr_queue_ptr 0
		.amdhsa_user_sgpr_kernarg_segment_ptr 1
		.amdhsa_user_sgpr_dispatch_id 0
		.amdhsa_user_sgpr_kernarg_preload_length 0
		.amdhsa_user_sgpr_kernarg_preload_offset 0
		.amdhsa_user_sgpr_private_segment_size 0
		.amdhsa_uses_dynamic_stack 0
		.amdhsa_enable_private_segment 0
		.amdhsa_system_sgpr_workgroup_id_x 1
		.amdhsa_system_sgpr_workgroup_id_y 0
		.amdhsa_system_sgpr_workgroup_id_z 0
		.amdhsa_system_sgpr_workgroup_info 0
		.amdhsa_system_vgpr_workitem_id 0
		.amdhsa_next_free_vgpr 90
		.amdhsa_next_free_sgpr 22
		.amdhsa_accum_offset 92
		.amdhsa_reserve_vcc 1
		.amdhsa_float_round_mode_32 0
		.amdhsa_float_round_mode_16_64 0
		.amdhsa_float_denorm_mode_32 3
		.amdhsa_float_denorm_mode_16_64 3
		.amdhsa_dx10_clamp 1
		.amdhsa_ieee_mode 1
		.amdhsa_fp16_overflow 0
		.amdhsa_tg_split 0
		.amdhsa_exception_fp_ieee_invalid_op 0
		.amdhsa_exception_fp_denorm_src 0
		.amdhsa_exception_fp_ieee_div_zero 0
		.amdhsa_exception_fp_ieee_overflow 0
		.amdhsa_exception_fp_ieee_underflow 0
		.amdhsa_exception_fp_ieee_inexact 0
		.amdhsa_exception_int_div_zero 0
	.end_amdhsa_kernel
	.text
.Lfunc_end0:
	.size	fft_rtc_back_len144_factors_6_6_4_wgs_120_tpt_12_halfLds_dp_ip_CI_unitstride_sbrr_C2R_dirReg, .Lfunc_end0-fft_rtc_back_len144_factors_6_6_4_wgs_120_tpt_12_halfLds_dp_ip_CI_unitstride_sbrr_C2R_dirReg
                                        ; -- End function
	.section	.AMDGPU.csdata,"",@progbits
; Kernel info:
; codeLenInByte = 6312
; NumSgprs: 28
; NumVgprs: 90
; NumAgprs: 0
; TotalNumVgprs: 90
; ScratchSize: 0
; MemoryBound: 0
; FloatMode: 240
; IeeeMode: 1
; LDSByteSize: 0 bytes/workgroup (compile time only)
; SGPRBlocks: 3
; VGPRBlocks: 11
; NumSGPRsForWavesPerEU: 28
; NumVGPRsForWavesPerEU: 90
; AccumOffset: 92
; Occupancy: 5
; WaveLimiterHint : 1
; COMPUTE_PGM_RSRC2:SCRATCH_EN: 0
; COMPUTE_PGM_RSRC2:USER_SGPR: 2
; COMPUTE_PGM_RSRC2:TRAP_HANDLER: 0
; COMPUTE_PGM_RSRC2:TGID_X_EN: 1
; COMPUTE_PGM_RSRC2:TGID_Y_EN: 0
; COMPUTE_PGM_RSRC2:TGID_Z_EN: 0
; COMPUTE_PGM_RSRC2:TIDIG_COMP_CNT: 0
; COMPUTE_PGM_RSRC3_GFX90A:ACCUM_OFFSET: 22
; COMPUTE_PGM_RSRC3_GFX90A:TG_SPLIT: 0
	.text
	.p2alignl 6, 3212836864
	.fill 256, 4, 3212836864
	.type	__hip_cuid_b4c908d9da62f052,@object ; @__hip_cuid_b4c908d9da62f052
	.section	.bss,"aw",@nobits
	.globl	__hip_cuid_b4c908d9da62f052
__hip_cuid_b4c908d9da62f052:
	.byte	0                               ; 0x0
	.size	__hip_cuid_b4c908d9da62f052, 1

	.ident	"AMD clang version 19.0.0git (https://github.com/RadeonOpenCompute/llvm-project roc-6.4.0 25133 c7fe45cf4b819c5991fe208aaa96edf142730f1d)"
	.section	".note.GNU-stack","",@progbits
	.addrsig
	.addrsig_sym __hip_cuid_b4c908d9da62f052
	.amdgpu_metadata
---
amdhsa.kernels:
  - .agpr_count:     0
    .args:
      - .actual_access:  read_only
        .address_space:  global
        .offset:         0
        .size:           8
        .value_kind:     global_buffer
      - .offset:         8
        .size:           8
        .value_kind:     by_value
      - .actual_access:  read_only
        .address_space:  global
        .offset:         16
        .size:           8
        .value_kind:     global_buffer
      - .actual_access:  read_only
        .address_space:  global
        .offset:         24
        .size:           8
        .value_kind:     global_buffer
      - .offset:         32
        .size:           8
        .value_kind:     by_value
      - .actual_access:  read_only
        .address_space:  global
        .offset:         40
        .size:           8
        .value_kind:     global_buffer
      - .actual_access:  read_only
        .address_space:  global
        .offset:         48
        .size:           8
        .value_kind:     global_buffer
      - .offset:         56
        .size:           4
        .value_kind:     by_value
      - .actual_access:  read_only
        .address_space:  global
        .offset:         64
        .size:           8
        .value_kind:     global_buffer
      - .actual_access:  read_only
        .address_space:  global
        .offset:         72
        .size:           8
        .value_kind:     global_buffer
      - .address_space:  global
        .offset:         80
        .size:           8
        .value_kind:     global_buffer
    .group_segment_fixed_size: 0
    .kernarg_segment_align: 8
    .kernarg_segment_size: 88
    .language:       OpenCL C
    .language_version:
      - 2
      - 0
    .max_flat_workgroup_size: 120
    .name:           fft_rtc_back_len144_factors_6_6_4_wgs_120_tpt_12_halfLds_dp_ip_CI_unitstride_sbrr_C2R_dirReg
    .private_segment_fixed_size: 0
    .sgpr_count:     28
    .sgpr_spill_count: 0
    .symbol:         fft_rtc_back_len144_factors_6_6_4_wgs_120_tpt_12_halfLds_dp_ip_CI_unitstride_sbrr_C2R_dirReg.kd
    .uniform_work_group_size: 1
    .uses_dynamic_stack: false
    .vgpr_count:     90
    .vgpr_spill_count: 0
    .wavefront_size: 64
amdhsa.target:   amdgcn-amd-amdhsa--gfx950
amdhsa.version:
  - 1
  - 2
...

	.end_amdgpu_metadata
